;; amdgpu-corpus repo=zjin-lcf/HeCBench kind=compiled arch=gfx906 opt=O3
	.amdgcn_target "amdgcn-amd-amdhsa--gfx906"
	.amdhsa_code_object_version 6
	.text
	.protected	_Z14gelu_bias_loopP6__halfPKS_ii ; -- Begin function _Z14gelu_bias_loopP6__halfPKS_ii
	.globl	_Z14gelu_bias_loopP6__halfPKS_ii
	.p2align	8
	.type	_Z14gelu_bias_loopP6__halfPKS_ii,@function
_Z14gelu_bias_loopP6__halfPKS_ii:       ; @_Z14gelu_bias_loopP6__halfPKS_ii
; %bb.0:
	s_load_dwordx2 s[8:9], s[4:5], 0x10
	v_lshlrev_b32_e32 v2, 1, v0
	s_waitcnt lgkmcnt(0)
	v_cmp_gt_i32_e32 vcc, s8, v2
	s_and_saveexec_b64 s[0:1], vcc
	s_cbranch_execz .LBB0_11
; %bb.1:
	s_load_dword s10, s[4:5], 0x24
	s_load_dwordx4 s[0:3], s[4:5], 0x0
	s_mul_i32 s4, s9, s7
	s_add_i32 s9, s4, s6
	s_mul_i32 s9, s9, s8
	s_waitcnt lgkmcnt(0)
	s_and_b32 s4, s10, 0xffff
	s_lshl_b32 s10, s4, 1
	s_mov_b64 s[4:5], 0
	v_mov_b32_e32 v3, s3
	v_mov_b32_e32 v4, s1
	s_mov_b32 s1, 0x3f200000
	s_mov_b32 s3, 0x3fb8aa3b
	s_mov_b32 s11, 0xc2ce8ed0
	s_mov_b32 s12, 0x42b17218
	v_mov_b32_e32 v5, 0xbd5c1c4e
	v_mov_b32_e32 v6, 0x3e088382
	;; [unrolled: 1-line block ×3, first 2 shown]
	s_brev_b32 s13, -2
	v_mov_b32_e32 v8, 0x7f800000
	s_branch .LBB0_3
.LBB0_2:                                ;   in Loop: Header=BB0_3 Depth=1
	s_or_b64 exec, exec, s[6:7]
	v_bfi_b32 v10, s13, v11, v10
	v_mul_f32_e32 v9, 0.5, v9
	v_add_f32_e32 v10, 1.0, v10
	v_bfi_b32 v12, s13, v14, v12
	v_add_u32_e32 v2, s10, v2
	v_mul_f32_e32 v11, 0.5, v13
	v_add_f32_e32 v12, 1.0, v12
	v_fma_mixlo_f16 v9, v9, v10, 0
	v_cmp_le_i32_e32 vcc, s8, v2
	v_fma_mixhi_f16 v9, v11, v12, 0
	s_or_b64 s[4:5], vcc, s[4:5]
	global_store_dword v[0:1], v9, off
	s_andn2_b64 exec, exec, s[4:5]
	s_cbranch_execz .LBB0_11
.LBB0_3:                                ; =>This Inner Loop Header: Depth=1
	v_ashrrev_i32_e32 v0, 1, v2
	v_ashrrev_i32_e32 v1, 31, v0
	v_lshlrev_b64 v[0:1], 2, v[0:1]
                                        ; implicit-def: $vgpr11
	v_add_co_u32_e32 v0, vcc, s2, v0
	v_addc_co_u32_e32 v1, vcc, v3, v1, vcc
	global_load_dword v9, v[0:1], off
	v_add_u32_e32 v0, s9, v2
	v_ashrrev_i32_e32 v0, 1, v0
	v_ashrrev_i32_e32 v1, 31, v0
	v_lshlrev_b64 v[0:1], 2, v[0:1]
	v_add_co_u32_e32 v0, vcc, s0, v0
	v_addc_co_u32_e32 v1, vcc, v4, v1, vcc
	global_load_dword v10, v[0:1], off
	s_waitcnt vmcnt(0)
	v_pk_add_f16 v12, v9, v10
	v_cvt_f32_f16_e32 v9, v12
	v_mul_f32_e32 v10, 0x3d372713, v9
	v_mul_f32_e32 v10, v10, v9
	v_fma_mix_f32 v10, v10, v12, v12 op_sel_hi:[0,1,1]
	v_mul_f32_e32 v10, 0x3f4c422a, v10
	v_cmp_nlt_f32_e64 s[6:7], |v10|, s1
	s_and_saveexec_b64 s[14:15], s[6:7]
	s_xor_b64 s[6:7], exec, s[14:15]
	s_cbranch_execz .LBB0_5
; %bb.4:                                ;   in Loop: Header=BB0_3 Depth=1
	v_add_f32_e64 v11, |v10|, |v10|
	v_mul_f32_e32 v13, 0x3fb8aa3b, v11
	v_rndne_f32_e32 v14, v13
	v_sub_f32_e32 v15, v13, v14
	v_fma_f32 v13, v11, s3, -v13
	v_fmac_f32_e32 v13, 0x32a5705f, v11
	v_add_f32_e32 v13, v15, v13
	v_cvt_i32_f32_e32 v14, v14
	v_exp_f32_e32 v13, v13
	v_cmp_ngt_f32_e32 vcc, s11, v11
	v_ldexp_f32 v13, v13, v14
	v_cndmask_b32_e32 v13, 0, v13, vcc
	v_cmp_nlt_f32_e32 vcc, s12, v11
	v_cndmask_b32_e32 v11, v8, v13, vcc
	v_add_f32_e32 v11, 1.0, v11
	v_rcp_f32_e32 v11, v11
	v_fma_f32 v11, v11, -2.0, 1.0
.LBB0_5:                                ;   in Loop: Header=BB0_3 Depth=1
	s_andn2_saveexec_b64 s[6:7], s[6:7]
; %bb.6:                                ;   in Loop: Header=BB0_3 Depth=1
	v_mul_f32_e32 v11, v10, v10
	v_mov_b32_e32 v13, 0x3ca908c9
	v_fmac_f32_e32 v13, 0xbbbac73d, v11
	v_fma_f32 v13, v11, v13, v5
	v_fma_f32 v13, v11, v13, v6
	;; [unrolled: 1-line block ×3, first 2 shown]
	v_mul_f32_e64 v13, |v10|, v13
	v_fma_f32 v11, v11, v13, |v10|
; %bb.7:                                ;   in Loop: Header=BB0_3 Depth=1
	s_or_b64 exec, exec, s[6:7]
	v_cvt_f32_f16_sdwa v13, v12 dst_sel:DWORD dst_unused:UNUSED_PAD src0_sel:WORD_1
	v_mul_f32_e32 v14, 0x3d372713, v13
	v_mul_f32_e32 v14, v14, v13
	v_fma_mix_f32 v12, v14, v12, v12 op_sel:[0,1,1] op_sel_hi:[0,1,1]
	v_mul_f32_e32 v12, 0x3f4c422a, v12
	v_cmp_nlt_f32_e64 s[6:7], |v12|, s1
                                        ; implicit-def: $vgpr14
	s_and_saveexec_b64 s[14:15], s[6:7]
	s_xor_b64 s[6:7], exec, s[14:15]
	s_cbranch_execz .LBB0_9
; %bb.8:                                ;   in Loop: Header=BB0_3 Depth=1
	v_add_f32_e64 v14, |v12|, |v12|
	v_mul_f32_e32 v15, 0x3fb8aa3b, v14
	v_rndne_f32_e32 v16, v15
	v_sub_f32_e32 v17, v15, v16
	v_fma_f32 v15, v14, s3, -v15
	v_fmac_f32_e32 v15, 0x32a5705f, v14
	v_add_f32_e32 v15, v17, v15
	v_cvt_i32_f32_e32 v16, v16
	v_exp_f32_e32 v15, v15
	v_cmp_ngt_f32_e32 vcc, s11, v14
	v_ldexp_f32 v15, v15, v16
	v_cndmask_b32_e32 v15, 0, v15, vcc
	v_cmp_nlt_f32_e32 vcc, s12, v14
	v_cndmask_b32_e32 v14, v8, v15, vcc
	v_add_f32_e32 v14, 1.0, v14
	v_rcp_f32_e32 v14, v14
	v_fma_f32 v14, v14, -2.0, 1.0
.LBB0_9:                                ;   in Loop: Header=BB0_3 Depth=1
	s_andn2_saveexec_b64 s[6:7], s[6:7]
	s_cbranch_execz .LBB0_2
; %bb.10:                               ;   in Loop: Header=BB0_3 Depth=1
	v_mul_f32_e32 v14, v12, v12
	v_mov_b32_e32 v15, 0x3ca908c9
	v_fmac_f32_e32 v15, 0xbbbac73d, v14
	v_fma_f32 v15, v14, v15, v5
	v_fma_f32 v15, v14, v15, v6
	;; [unrolled: 1-line block ×3, first 2 shown]
	v_mul_f32_e64 v15, |v12|, v15
	v_fma_f32 v14, v14, v15, |v12|
	s_branch .LBB0_2
.LBB0_11:
	s_endpgm
	.section	.rodata,"a",@progbits
	.p2align	6, 0x0
	.amdhsa_kernel _Z14gelu_bias_loopP6__halfPKS_ii
		.amdhsa_group_segment_fixed_size 0
		.amdhsa_private_segment_fixed_size 0
		.amdhsa_kernarg_size 280
		.amdhsa_user_sgpr_count 6
		.amdhsa_user_sgpr_private_segment_buffer 1
		.amdhsa_user_sgpr_dispatch_ptr 0
		.amdhsa_user_sgpr_queue_ptr 0
		.amdhsa_user_sgpr_kernarg_segment_ptr 1
		.amdhsa_user_sgpr_dispatch_id 0
		.amdhsa_user_sgpr_flat_scratch_init 0
		.amdhsa_user_sgpr_private_segment_size 0
		.amdhsa_uses_dynamic_stack 0
		.amdhsa_system_sgpr_private_segment_wavefront_offset 0
		.amdhsa_system_sgpr_workgroup_id_x 1
		.amdhsa_system_sgpr_workgroup_id_y 1
		.amdhsa_system_sgpr_workgroup_id_z 0
		.amdhsa_system_sgpr_workgroup_info 0
		.amdhsa_system_vgpr_workitem_id 0
		.amdhsa_next_free_vgpr 18
		.amdhsa_next_free_sgpr 16
		.amdhsa_reserve_vcc 1
		.amdhsa_reserve_flat_scratch 0
		.amdhsa_float_round_mode_32 0
		.amdhsa_float_round_mode_16_64 0
		.amdhsa_float_denorm_mode_32 3
		.amdhsa_float_denorm_mode_16_64 3
		.amdhsa_dx10_clamp 1
		.amdhsa_ieee_mode 1
		.amdhsa_fp16_overflow 0
		.amdhsa_exception_fp_ieee_invalid_op 0
		.amdhsa_exception_fp_denorm_src 0
		.amdhsa_exception_fp_ieee_div_zero 0
		.amdhsa_exception_fp_ieee_overflow 0
		.amdhsa_exception_fp_ieee_underflow 0
		.amdhsa_exception_fp_ieee_inexact 0
		.amdhsa_exception_int_div_zero 0
	.end_amdhsa_kernel
	.text
.Lfunc_end0:
	.size	_Z14gelu_bias_loopP6__halfPKS_ii, .Lfunc_end0-_Z14gelu_bias_loopP6__halfPKS_ii
                                        ; -- End function
	.set _Z14gelu_bias_loopP6__halfPKS_ii.num_vgpr, 18
	.set _Z14gelu_bias_loopP6__halfPKS_ii.num_agpr, 0
	.set _Z14gelu_bias_loopP6__halfPKS_ii.numbered_sgpr, 16
	.set _Z14gelu_bias_loopP6__halfPKS_ii.num_named_barrier, 0
	.set _Z14gelu_bias_loopP6__halfPKS_ii.private_seg_size, 0
	.set _Z14gelu_bias_loopP6__halfPKS_ii.uses_vcc, 1
	.set _Z14gelu_bias_loopP6__halfPKS_ii.uses_flat_scratch, 0
	.set _Z14gelu_bias_loopP6__halfPKS_ii.has_dyn_sized_stack, 0
	.set _Z14gelu_bias_loopP6__halfPKS_ii.has_recursion, 0
	.set _Z14gelu_bias_loopP6__halfPKS_ii.has_indirect_call, 0
	.section	.AMDGPU.csdata,"",@progbits
; Kernel info:
; codeLenInByte = 752
; TotalNumSgprs: 20
; NumVgprs: 18
; ScratchSize: 0
; MemoryBound: 0
; FloatMode: 240
; IeeeMode: 1
; LDSByteSize: 0 bytes/workgroup (compile time only)
; SGPRBlocks: 2
; VGPRBlocks: 4
; NumSGPRsForWavesPerEU: 20
; NumVGPRsForWavesPerEU: 18
; Occupancy: 10
; WaveLimiterHint : 0
; COMPUTE_PGM_RSRC2:SCRATCH_EN: 0
; COMPUTE_PGM_RSRC2:USER_SGPR: 6
; COMPUTE_PGM_RSRC2:TRAP_HANDLER: 0
; COMPUTE_PGM_RSRC2:TGID_X_EN: 1
; COMPUTE_PGM_RSRC2:TGID_Y_EN: 1
; COMPUTE_PGM_RSRC2:TGID_Z_EN: 0
; COMPUTE_PGM_RSRC2:TIDIG_COMP_CNT: 0
	.text
	.protected	_Z19gelu_bias_loop_baseP6__halfPKS_ii ; -- Begin function _Z19gelu_bias_loop_baseP6__halfPKS_ii
	.globl	_Z19gelu_bias_loop_baseP6__halfPKS_ii
	.p2align	8
	.type	_Z19gelu_bias_loop_baseP6__halfPKS_ii,@function
_Z19gelu_bias_loop_baseP6__halfPKS_ii:  ; @_Z19gelu_bias_loop_baseP6__halfPKS_ii
; %bb.0:
	s_load_dwordx2 s[8:9], s[4:5], 0x10
	s_waitcnt lgkmcnt(0)
	v_cmp_gt_i32_e32 vcc, s8, v0
	s_and_saveexec_b64 s[0:1], vcc
	s_cbranch_execz .LBB1_7
; %bb.1:
	s_load_dword s10, s[4:5], 0x24
	s_load_dwordx4 s[0:3], s[4:5], 0x0
	s_mul_i32 s4, s9, s7
	s_add_i32 s9, s4, s6
	s_mul_i32 s9, s9, s8
	s_waitcnt lgkmcnt(0)
	s_and_b32 s10, s10, 0xffff
	s_mov_b64 s[4:5], 0
	v_mov_b32_e32 v3, s3
	v_mov_b32_e32 v4, s1
	s_mov_b32 s1, 0x3f200000
	s_mov_b32 s3, 0x3fb8aa3b
	;; [unrolled: 1-line block ×4, first 2 shown]
	v_mov_b32_e32 v5, 0xbd5c1c4e
	v_mov_b32_e32 v6, 0x3e088382
	;; [unrolled: 1-line block ×3, first 2 shown]
	s_brev_b32 s13, -2
	v_mov_b32_e32 v8, 0x7f800000
	s_branch .LBB1_3
.LBB1_2:                                ;   in Loop: Header=BB1_3 Depth=1
	s_or_b64 exec, exec, s[6:7]
	v_bfi_b32 v10, s13, v11, v10
	v_add_u32_e32 v0, s10, v0
	v_mul_f32_e32 v9, 0.5, v9
	v_add_f32_e32 v10, 1.0, v10
	v_cmp_le_i32_e32 vcc, s8, v0
	v_fma_mixlo_f16 v9, v9, v10, 0
	s_or_b64 s[4:5], vcc, s[4:5]
	global_store_short v[1:2], v9, off
	s_andn2_b64 exec, exec, s[4:5]
	s_cbranch_execz .LBB1_7
.LBB1_3:                                ; =>This Inner Loop Header: Depth=1
	v_ashrrev_i32_e32 v1, 31, v0
	v_lshlrev_b64 v[1:2], 1, v[0:1]
	v_add_co_u32_e32 v1, vcc, s2, v1
	v_addc_co_u32_e32 v2, vcc, v3, v2, vcc
	global_load_ushort v9, v[1:2], off
	v_add_u32_e32 v1, s9, v0
	v_ashrrev_i32_e32 v2, 31, v1
	v_lshlrev_b64 v[1:2], 1, v[1:2]
	v_add_co_u32_e32 v1, vcc, s0, v1
	v_addc_co_u32_e32 v2, vcc, v4, v2, vcc
	global_load_ushort v10, v[1:2], off
	s_waitcnt vmcnt(0)
	v_add_f16_e32 v10, v9, v10
	v_cvt_f32_f16_e32 v9, v10
	v_mul_f32_e32 v11, 0x3d372713, v9
	v_mul_f32_e32 v11, v11, v9
	v_fma_mix_f32 v10, v11, v10, v10 op_sel_hi:[0,1,1]
	v_mul_f32_e32 v10, 0x3f4c422a, v10
	v_cmp_nlt_f32_e64 s[6:7], |v10|, s1
                                        ; implicit-def: $vgpr11
	s_and_saveexec_b64 s[14:15], s[6:7]
	s_xor_b64 s[6:7], exec, s[14:15]
	s_cbranch_execz .LBB1_5
; %bb.4:                                ;   in Loop: Header=BB1_3 Depth=1
	v_add_f32_e64 v11, |v10|, |v10|
	v_mul_f32_e32 v12, 0x3fb8aa3b, v11
	v_rndne_f32_e32 v13, v12
	v_sub_f32_e32 v14, v12, v13
	v_fma_f32 v12, v11, s3, -v12
	v_fmac_f32_e32 v12, 0x32a5705f, v11
	v_add_f32_e32 v12, v14, v12
	v_cvt_i32_f32_e32 v13, v13
	v_exp_f32_e32 v12, v12
	v_cmp_ngt_f32_e32 vcc, s11, v11
	v_ldexp_f32 v12, v12, v13
	v_cndmask_b32_e32 v12, 0, v12, vcc
	v_cmp_nlt_f32_e32 vcc, s12, v11
	v_cndmask_b32_e32 v11, v8, v12, vcc
	v_add_f32_e32 v11, 1.0, v11
	v_rcp_f32_e32 v11, v11
	v_fma_f32 v11, v11, -2.0, 1.0
.LBB1_5:                                ;   in Loop: Header=BB1_3 Depth=1
	s_andn2_saveexec_b64 s[6:7], s[6:7]
	s_cbranch_execz .LBB1_2
; %bb.6:                                ;   in Loop: Header=BB1_3 Depth=1
	v_mul_f32_e32 v11, v10, v10
	v_mov_b32_e32 v12, 0x3ca908c9
	v_fmac_f32_e32 v12, 0xbbbac73d, v11
	v_fma_f32 v12, v11, v12, v5
	v_fma_f32 v12, v11, v12, v6
	;; [unrolled: 1-line block ×3, first 2 shown]
	v_mul_f32_e64 v12, |v10|, v12
	v_fma_f32 v11, v11, v12, |v10|
	s_branch .LBB1_2
.LBB1_7:
	s_endpgm
	.section	.rodata,"a",@progbits
	.p2align	6, 0x0
	.amdhsa_kernel _Z19gelu_bias_loop_baseP6__halfPKS_ii
		.amdhsa_group_segment_fixed_size 0
		.amdhsa_private_segment_fixed_size 0
		.amdhsa_kernarg_size 280
		.amdhsa_user_sgpr_count 6
		.amdhsa_user_sgpr_private_segment_buffer 1
		.amdhsa_user_sgpr_dispatch_ptr 0
		.amdhsa_user_sgpr_queue_ptr 0
		.amdhsa_user_sgpr_kernarg_segment_ptr 1
		.amdhsa_user_sgpr_dispatch_id 0
		.amdhsa_user_sgpr_flat_scratch_init 0
		.amdhsa_user_sgpr_private_segment_size 0
		.amdhsa_uses_dynamic_stack 0
		.amdhsa_system_sgpr_private_segment_wavefront_offset 0
		.amdhsa_system_sgpr_workgroup_id_x 1
		.amdhsa_system_sgpr_workgroup_id_y 1
		.amdhsa_system_sgpr_workgroup_id_z 0
		.amdhsa_system_sgpr_workgroup_info 0
		.amdhsa_system_vgpr_workitem_id 0
		.amdhsa_next_free_vgpr 15
		.amdhsa_next_free_sgpr 16
		.amdhsa_reserve_vcc 1
		.amdhsa_reserve_flat_scratch 0
		.amdhsa_float_round_mode_32 0
		.amdhsa_float_round_mode_16_64 0
		.amdhsa_float_denorm_mode_32 3
		.amdhsa_float_denorm_mode_16_64 3
		.amdhsa_dx10_clamp 1
		.amdhsa_ieee_mode 1
		.amdhsa_fp16_overflow 0
		.amdhsa_exception_fp_ieee_invalid_op 0
		.amdhsa_exception_fp_denorm_src 0
		.amdhsa_exception_fp_ieee_div_zero 0
		.amdhsa_exception_fp_ieee_overflow 0
		.amdhsa_exception_fp_ieee_underflow 0
		.amdhsa_exception_fp_ieee_inexact 0
		.amdhsa_exception_int_div_zero 0
	.end_amdhsa_kernel
	.text
.Lfunc_end1:
	.size	_Z19gelu_bias_loop_baseP6__halfPKS_ii, .Lfunc_end1-_Z19gelu_bias_loop_baseP6__halfPKS_ii
                                        ; -- End function
	.set _Z19gelu_bias_loop_baseP6__halfPKS_ii.num_vgpr, 15
	.set _Z19gelu_bias_loop_baseP6__halfPKS_ii.num_agpr, 0
	.set _Z19gelu_bias_loop_baseP6__halfPKS_ii.numbered_sgpr, 16
	.set _Z19gelu_bias_loop_baseP6__halfPKS_ii.num_named_barrier, 0
	.set _Z19gelu_bias_loop_baseP6__halfPKS_ii.private_seg_size, 0
	.set _Z19gelu_bias_loop_baseP6__halfPKS_ii.uses_vcc, 1
	.set _Z19gelu_bias_loop_baseP6__halfPKS_ii.uses_flat_scratch, 0
	.set _Z19gelu_bias_loop_baseP6__halfPKS_ii.has_dyn_sized_stack, 0
	.set _Z19gelu_bias_loop_baseP6__halfPKS_ii.has_recursion, 0
	.set _Z19gelu_bias_loop_baseP6__halfPKS_ii.has_indirect_call, 0
	.section	.AMDGPU.csdata,"",@progbits
; Kernel info:
; codeLenInByte = 492
; TotalNumSgprs: 20
; NumVgprs: 15
; ScratchSize: 0
; MemoryBound: 0
; FloatMode: 240
; IeeeMode: 1
; LDSByteSize: 0 bytes/workgroup (compile time only)
; SGPRBlocks: 2
; VGPRBlocks: 3
; NumSGPRsForWavesPerEU: 20
; NumVGPRsForWavesPerEU: 15
; Occupancy: 10
; WaveLimiterHint : 0
; COMPUTE_PGM_RSRC2:SCRATCH_EN: 0
; COMPUTE_PGM_RSRC2:USER_SGPR: 6
; COMPUTE_PGM_RSRC2:TRAP_HANDLER: 0
; COMPUTE_PGM_RSRC2:TGID_X_EN: 1
; COMPUTE_PGM_RSRC2:TGID_Y_EN: 1
; COMPUTE_PGM_RSRC2:TGID_Z_EN: 0
; COMPUTE_PGM_RSRC2:TIDIG_COMP_CNT: 0
	.section	.AMDGPU.gpr_maximums,"",@progbits
	.set amdgpu.max_num_vgpr, 0
	.set amdgpu.max_num_agpr, 0
	.set amdgpu.max_num_sgpr, 0
	.section	.AMDGPU.csdata,"",@progbits
	.type	__hip_cuid_2c46eb076a46aa4f,@object ; @__hip_cuid_2c46eb076a46aa4f
	.section	.bss,"aw",@nobits
	.globl	__hip_cuid_2c46eb076a46aa4f
__hip_cuid_2c46eb076a46aa4f:
	.byte	0                               ; 0x0
	.size	__hip_cuid_2c46eb076a46aa4f, 1

	.ident	"AMD clang version 22.0.0git (https://github.com/RadeonOpenCompute/llvm-project roc-7.2.4 26084 f58b06dce1f9c15707c5f808fd002e18c2accf7e)"
	.section	".note.GNU-stack","",@progbits
	.addrsig
	.addrsig_sym __hip_cuid_2c46eb076a46aa4f
	.amdgpu_metadata
---
amdhsa.kernels:
  - .args:
      - .address_space:  global
        .offset:         0
        .size:           8
        .value_kind:     global_buffer
      - .address_space:  global
        .offset:         8
        .size:           8
        .value_kind:     global_buffer
      - .offset:         16
        .size:           4
        .value_kind:     by_value
      - .offset:         20
        .size:           4
        .value_kind:     by_value
      - .offset:         24
        .size:           4
        .value_kind:     hidden_block_count_x
      - .offset:         28
        .size:           4
        .value_kind:     hidden_block_count_y
      - .offset:         32
        .size:           4
        .value_kind:     hidden_block_count_z
      - .offset:         36
        .size:           2
        .value_kind:     hidden_group_size_x
      - .offset:         38
        .size:           2
        .value_kind:     hidden_group_size_y
      - .offset:         40
        .size:           2
        .value_kind:     hidden_group_size_z
      - .offset:         42
        .size:           2
        .value_kind:     hidden_remainder_x
      - .offset:         44
        .size:           2
        .value_kind:     hidden_remainder_y
      - .offset:         46
        .size:           2
        .value_kind:     hidden_remainder_z
      - .offset:         64
        .size:           8
        .value_kind:     hidden_global_offset_x
      - .offset:         72
        .size:           8
        .value_kind:     hidden_global_offset_y
      - .offset:         80
        .size:           8
        .value_kind:     hidden_global_offset_z
      - .offset:         88
        .size:           2
        .value_kind:     hidden_grid_dims
    .group_segment_fixed_size: 0
    .kernarg_segment_align: 8
    .kernarg_segment_size: 280
    .language:       OpenCL C
    .language_version:
      - 2
      - 0
    .max_flat_workgroup_size: 1024
    .name:           _Z14gelu_bias_loopP6__halfPKS_ii
    .private_segment_fixed_size: 0
    .sgpr_count:     20
    .sgpr_spill_count: 0
    .symbol:         _Z14gelu_bias_loopP6__halfPKS_ii.kd
    .uniform_work_group_size: 1
    .uses_dynamic_stack: false
    .vgpr_count:     18
    .vgpr_spill_count: 0
    .wavefront_size: 64
  - .args:
      - .address_space:  global
        .offset:         0
        .size:           8
        .value_kind:     global_buffer
      - .address_space:  global
        .offset:         8
        .size:           8
        .value_kind:     global_buffer
      - .offset:         16
        .size:           4
        .value_kind:     by_value
      - .offset:         20
        .size:           4
        .value_kind:     by_value
      - .offset:         24
        .size:           4
        .value_kind:     hidden_block_count_x
      - .offset:         28
        .size:           4
        .value_kind:     hidden_block_count_y
      - .offset:         32
        .size:           4
        .value_kind:     hidden_block_count_z
      - .offset:         36
        .size:           2
        .value_kind:     hidden_group_size_x
      - .offset:         38
        .size:           2
        .value_kind:     hidden_group_size_y
      - .offset:         40
        .size:           2
        .value_kind:     hidden_group_size_z
      - .offset:         42
        .size:           2
        .value_kind:     hidden_remainder_x
      - .offset:         44
        .size:           2
        .value_kind:     hidden_remainder_y
      - .offset:         46
        .size:           2
        .value_kind:     hidden_remainder_z
      - .offset:         64
        .size:           8
        .value_kind:     hidden_global_offset_x
      - .offset:         72
        .size:           8
        .value_kind:     hidden_global_offset_y
      - .offset:         80
        .size:           8
        .value_kind:     hidden_global_offset_z
      - .offset:         88
        .size:           2
        .value_kind:     hidden_grid_dims
    .group_segment_fixed_size: 0
    .kernarg_segment_align: 8
    .kernarg_segment_size: 280
    .language:       OpenCL C
    .language_version:
      - 2
      - 0
    .max_flat_workgroup_size: 1024
    .name:           _Z19gelu_bias_loop_baseP6__halfPKS_ii
    .private_segment_fixed_size: 0
    .sgpr_count:     20
    .sgpr_spill_count: 0
    .symbol:         _Z19gelu_bias_loop_baseP6__halfPKS_ii.kd
    .uniform_work_group_size: 1
    .uses_dynamic_stack: false
    .vgpr_count:     15
    .vgpr_spill_count: 0
    .wavefront_size: 64
amdhsa.target:   amdgcn-amd-amdhsa--gfx906
amdhsa.version:
  - 1
  - 2
...

	.end_amdgpu_metadata
